;; amdgpu-corpus repo=ROCm/rocFFT kind=compiled arch=gfx950 opt=O3
	.text
	.amdgcn_target "amdgcn-amd-amdhsa--gfx950"
	.amdhsa_code_object_version 6
	.protected	fft_rtc_fwd_len55_factors_5_11_wgs_121_tpt_11_dim1_sp_ip_CI_sbrr_dirReg ; -- Begin function fft_rtc_fwd_len55_factors_5_11_wgs_121_tpt_11_dim1_sp_ip_CI_sbrr_dirReg
	.globl	fft_rtc_fwd_len55_factors_5_11_wgs_121_tpt_11_dim1_sp_ip_CI_sbrr_dirReg
	.p2align	8
	.type	fft_rtc_fwd_len55_factors_5_11_wgs_121_tpt_11_dim1_sp_ip_CI_sbrr_dirReg,@function
fft_rtc_fwd_len55_factors_5_11_wgs_121_tpt_11_dim1_sp_ip_CI_sbrr_dirReg: ; @fft_rtc_fwd_len55_factors_5_11_wgs_121_tpt_11_dim1_sp_ip_CI_sbrr_dirReg
; %bb.0:
	s_load_dwordx4 s[8:11], s[0:1], 0x10
	s_load_dwordx2 s[12:13], s[0:1], 0x48
	v_mul_u32_u24_e32 v1, 0x1746, v0
	v_lshrrev_b32_e32 v2, 16, v1
	v_mad_u64_u32 v[8:9], s[2:3], s2, 11, v[2:3]
	s_waitcnt lgkmcnt(0)
	s_load_dwordx4 s[4:7], s[8:9], 0x0
	v_mov_b32_e32 v9, 0
	v_mul_lo_u16_e32 v1, 11, v2
	v_cmp_gt_u64_e32 vcc, s[10:11], v[8:9]
	v_sub_u16_e32 v24, v0, v1
	s_waitcnt lgkmcnt(0)
	v_mad_u64_u32 v[4:5], s[2:3], s6, v8, 0
	v_mov_b32_e32 v6, v5
	v_mad_u64_u32 v[6:7], s[2:3], s7, v8, v[6:7]
	v_mov_b32_e32 v5, v6
	v_lshl_add_u64 v[14:15], v[4:5], 3, s[12:13]
                                        ; implicit-def: $vgpr0
                                        ; implicit-def: $vgpr2
                                        ; implicit-def: $vgpr4
                                        ; implicit-def: $vgpr10
                                        ; implicit-def: $vgpr6
	s_and_saveexec_b64 s[2:3], vcc
	s_cbranch_execz .LBB0_2
; %bb.1:
	v_mad_u64_u32 v[0:1], s[6:7], s4, v24, 0
	v_mov_b32_e32 v2, v1
	v_mad_u64_u32 v[2:3], s[6:7], s5, v24, v[2:3]
	v_mov_b32_e32 v1, v2
	v_add_u32_e32 v3, 11, v24
	v_lshl_add_u64 v[12:13], v[0:1], 3, v[14:15]
	v_mad_u64_u32 v[0:1], s[6:7], s4, v3, 0
	v_mov_b32_e32 v2, v1
	v_mad_u64_u32 v[2:3], s[6:7], s5, v3, v[2:3]
	v_mov_b32_e32 v1, v2
	v_add_u32_e32 v3, 22, v24
	v_lshl_add_u64 v[16:17], v[0:1], 3, v[14:15]
	;; [unrolled: 6-line block ×4, first 2 shown]
	v_mad_u64_u32 v[0:1], s[6:7], s4, v3, 0
	v_mov_b32_e32 v2, v1
	v_mad_u64_u32 v[2:3], s[6:7], s5, v3, v[2:3]
	v_mov_b32_e32 v1, v2
	v_lshl_add_u64 v[22:23], v[0:1], 3, v[14:15]
	global_load_dwordx2 v[0:1], v[12:13], off
	global_load_dwordx2 v[2:3], v[16:17], off
	;; [unrolled: 1-line block ×5, first 2 shown]
.LBB0_2:
	s_or_b64 exec, exec, s[2:3]
	s_waitcnt vmcnt(3)
	v_mov_b32_e32 v16, v2
	s_waitcnt vmcnt(0)
	v_mov_b32_e32 v17, v6
	v_mov_b32_e32 v18, v4
	;; [unrolled: 1-line block ×3, first 2 shown]
	v_pk_add_f32 v[20:21], v[16:17], v[18:19] neg_lo:[0,1] neg_hi:[0,1]
	v_pk_add_f32 v[16:17], v[18:19], v[16:17] neg_lo:[0,1] neg_hi:[0,1]
	v_mov_b32_e32 v22, v21
	v_mov_b32_e32 v18, v17
	v_pk_add_f32 v[20:21], v[20:21], v[22:23]
	v_pk_add_f32 v[16:17], v[16:17], v[18:19]
	v_mov_b32_e32 v18, v3
	v_mov_b32_e32 v19, v7
	v_mov_b32_e32 v22, v5
	v_mov_b32_e32 v23, v11
	v_pk_add_f32 v[26:27], v[18:19], v[22:23] neg_lo:[0,1] neg_hi:[0,1]
	v_pk_add_f32 v[18:19], v[22:23], v[18:19] neg_lo:[0,1] neg_hi:[0,1]
	v_pk_add_f32 v[12:13], v[0:1], v[2:3]
	v_mov_b32_e32 v28, v27
	v_mov_b32_e32 v22, v19
	s_mov_b32 s2, 0xba2e8ba3
	v_pk_add_f32 v[12:13], v[12:13], v[4:5]
	v_pk_add_f32 v[26:27], v[26:27], v[28:29]
	;; [unrolled: 1-line block ×4, first 2 shown]
	s_mov_b32 s6, 0x3e9e377a
	v_pk_add_f32 v[4:5], v[4:5], v[10:11] neg_lo:[0,1] neg_hi:[0,1]
	v_mul_hi_u32 v9, v8, s2
	v_pk_add_f32 v[28:29], v[2:3], v[6:7] neg_lo:[0,1] neg_hi:[0,1]
	s_mov_b32 s2, 0x3f737871
	s_mov_b32 s7, 0x3f167918
	v_mov_b32_e32 v21, v5
	v_pk_add_f32 v[2:3], v[2:3], v[6:7]
	v_mov_b32_e32 v27, v4
	v_pk_add_f32 v[12:13], v[12:13], v[10:11]
	v_pk_fma_f32 v[18:19], v[18:19], 0.5, v[0:1] op_sel_hi:[1,0,1] neg_lo:[1,0,0] neg_hi:[1,0,0]
	v_pk_mul_f32 v[30:31], v[28:29], s[2:3] op_sel_hi:[1,0]
	v_mov_b32_e32 v17, v29
	v_mov_b32_e32 v23, v28
	v_pk_mul_f32 v[10:11], v[20:21], s[6:7]
	v_pk_fma_f32 v[0:1], v[2:3], 0.5, v[0:1] op_sel_hi:[1,0,1] neg_lo:[1,0,0] neg_hi:[1,0,0]
	v_pk_mul_f32 v[2:3], v[4:5], s[2:3] op_sel_hi:[1,0]
	v_pk_mul_f32 v[4:5], v[26:27], s[6:7]
	v_pk_mul_f32 v[16:17], v[16:17], s[6:7]
	v_pk_add_f32 v[32:33], v[18:19], v[30:31] op_sel:[0,1] op_sel_hi:[1,0]
	v_pk_add_f32 v[30:31], v[18:19], v[30:31] op_sel:[0,1] op_sel_hi:[1,0] neg_lo:[0,1] neg_hi:[0,1]
	v_pk_mul_f32 v[18:19], v[22:23], s[6:7]
	v_mov_b32_e32 v28, v11
	v_mov_b32_e32 v29, v5
	v_pk_add_f32 v[12:13], v[12:13], v[6:7]
	v_pk_add_f32 v[6:7], v[0:1], v[2:3] op_sel:[0,1] op_sel_hi:[1,0] neg_lo:[0,1] neg_hi:[0,1]
	v_pk_add_f32 v[2:3], v[0:1], v[2:3] op_sel:[0,1] op_sel_hi:[1,0]
	v_pk_add_f32 v[0:1], v[32:33], v[28:29]
	v_pk_fma_f32 v[20:21], v[26:27], s[6:7], v[30:31] neg_lo:[1,0,0] neg_hi:[1,0,0]
	v_mov_b32_e32 v11, v4
	v_mov_b32_e32 v4, v17
	;; [unrolled: 1-line block ×3, first 2 shown]
	v_lshrrev_b32_e32 v9, 3, v9
	v_mov_b32_e32 v1, v21
	v_pk_add_f32 v[20:21], v[6:7], v[4:5]
	v_pk_fma_f32 v[34:35], v[22:23], s[6:7], v[2:3] neg_lo:[1,0,0] neg_hi:[1,0,0]
	v_pk_add_f32 v[2:3], v[2:3], v[4:5] neg_lo:[0,1] neg_hi:[0,1]
	v_pk_fma_f32 v[4:5], v[22:23], s[6:7], v[6:7]
	v_mul_lo_u32 v9, v9, 11
	v_mov_b32_e32 v21, v35
	v_mov_b32_e32 v17, v18
	;; [unrolled: 1-line block ×3, first 2 shown]
	v_sub_u32_e32 v8, v8, v9
	v_pk_add_f32 v[18:19], v[16:17], v[20:21]
	v_pk_add_f32 v[20:21], v[16:17], v[2:3]
	v_pk_add_f32 v[2:3], v[30:31], v[28:29] neg_lo:[0,1] neg_hi:[0,1]
	v_pk_fma_f32 v[4:5], v[26:27], s[6:7], v[32:33]
	v_mul_u32_u24_e32 v8, 55, v8
	v_mad_u32_u24 v9, v24, 40, 0
	v_mov_b32_e32 v3, v5
	v_lshl_add_u32 v25, v8, 3, v9
	v_pk_add_f32 v[0:1], v[10:11], v[0:1]
	v_pk_add_f32 v[2:3], v[10:11], v[2:3]
	v_cmp_gt_u16_e64 s[2:3], 5, v24
	ds_write2_b64 v25, v[12:13], v[0:1] offset1:1
	ds_write2_b64 v25, v[18:19], v[20:21] offset0:2 offset1:3
	ds_write_b64 v25, v[2:3] offset:32
	s_waitcnt lgkmcnt(0)
	s_barrier
	s_waitcnt lgkmcnt(0)
                                        ; implicit-def: $vgpr17
                                        ; implicit-def: $vgpr11
                                        ; implicit-def: $vgpr22
                                        ; implicit-def: $vgpr6
	s_and_saveexec_b64 s[6:7], s[2:3]
	s_cbranch_execnz .LBB0_5
; %bb.3:
	s_or_b64 exec, exec, s[6:7]
	s_and_b64 s[2:3], vcc, s[2:3]
	s_and_saveexec_b64 s[6:7], s[2:3]
	s_cbranch_execnz .LBB0_6
.LBB0_4:
	s_endpgm
.LBB0_5:
	v_lshlrev_b32_e32 v0, 3, v8
	v_lshlrev_b32_e32 v1, 3, v24
	v_add3_u32 v1, 0, v0, v1
	ds_read_b64 v[12:13], v1
	v_lshlrev_b32_e32 v1, 5, v24
	v_sub_u32_e32 v1, v9, v1
	v_add_u32_e32 v18, v1, v0
	ds_read2_b64 v[26:29], v18 offset0:5 offset1:10
	ds_read2_b64 v[0:3], v18 offset0:15 offset1:20
	;; [unrolled: 1-line block ×4, first 2 shown]
	ds_read2_b32 v[16:17], v18 offset0:70 offset1:71
	ds_read_b64 v[22:23], v18 offset:400
	s_waitcnt lgkmcnt(4)
	v_mov_b32_e32 v21, v1
	v_mov_b32_e32 v20, v0
	;; [unrolled: 1-line block ×6, first 2 shown]
	s_or_b64 exec, exec, s[6:7]
	s_and_b64 s[2:3], vcc, s[2:3]
	s_and_saveexec_b64 s[6:7], s[2:3]
	s_cbranch_execz .LBB0_4
.LBB0_6:
	s_movk_i32 s2, 0xcd
	v_mul_lo_u16_sdwa v25, v24, s2 dst_sel:DWORD dst_unused:UNUSED_PAD src0_sel:BYTE_0 src1_sel:DWORD
	v_lshrrev_b16_e32 v25, 10, v25
	s_load_dwordx2 s[0:1], s[0:1], 0x0
	v_mul_lo_u16_e32 v25, 5, v25
	v_sub_u16_e32 v25, v24, v25
	v_mul_lo_u16_e32 v25, 10, v25
	v_and_b32_e32 v25, 0xfe, v25
	v_lshlrev_b32_e32 v25, 3, v25
	s_waitcnt lgkmcnt(0)
	global_load_dwordx4 v[26:29], v25, s[0:1] offset:32
	global_load_dwordx4 v[30:33], v25, s[0:1]
	global_load_dwordx4 v[34:37], v25, s[0:1] offset:16
	global_load_dwordx4 v[38:41], v25, s[0:1] offset:64
	;; [unrolled: 1-line block ×3, first 2 shown]
	v_mov_b32_e32 v48, v11
	v_mov_b32_e32 v50, v9
	v_mad_u64_u32 v[46:47], s[0:1], s4, v24, 0
	v_add_u32_e32 v62, 10, v24
	v_add_u32_e32 v25, 5, v24
	;; [unrolled: 1-line block ×3, first 2 shown]
	s_mov_b32 s6, 0xbf0a6770
	s_mov_b32 s2, 0x3f575c64
	;; [unrolled: 1-line block ×10, first 2 shown]
	s_waitcnt vmcnt(4)
	v_pk_mul_f32 v[48:49], v[48:49], v[28:29] op_sel_hi:[0,1]
	v_pk_mul_f32 v[50:51], v[50:51], v[26:27] op_sel_hi:[0,1]
	v_pk_fma_f32 v[52:53], v[10:11], v[28:29], v[48:49] op_sel:[0,0,1] op_sel_hi:[1,1,0] neg_lo:[0,0,1] neg_hi:[0,0,1]
	v_pk_fma_f32 v[28:29], v[10:11], v[28:29], v[48:49] op_sel:[0,0,1] op_sel_hi:[0,1,0]
	v_mov_b32_e32 v10, v1
	v_pk_fma_f32 v[48:49], v[8:9], v[26:27], v[50:51] op_sel:[0,0,1] op_sel_hi:[1,1,0] neg_lo:[0,0,1] neg_hi:[0,0,1]
	v_pk_fma_f32 v[26:27], v[8:9], v[26:27], v[50:51] op_sel:[0,0,1] op_sel_hi:[0,1,0]
	s_waitcnt vmcnt(3)
	v_pk_mul_f32 v[10:11], v[10:11], v[30:31] op_sel_hi:[0,1]
	v_mov_b32_e32 v26, v19
	v_pk_fma_f32 v[54:55], v[0:1], v[30:31], v[10:11] op_sel:[0,0,1] op_sel_hi:[1,1,0] neg_lo:[0,0,1] neg_hi:[0,0,1]
	v_pk_fma_f32 v[30:31], v[0:1], v[30:31], v[10:11] op_sel:[0,0,1] op_sel_hi:[0,1,0]
	v_mov_b32_e32 v10, v3
	v_pk_mul_f32 v[50:51], v[26:27], v[32:33] op_sel_hi:[0,1]
	s_waitcnt vmcnt(2)
	v_pk_mul_f32 v[10:11], v[10:11], v[36:37] op_sel_hi:[0,1]
	v_pk_fma_f32 v[56:57], v[18:19], v[32:33], v[50:51] op_sel:[0,0,1] op_sel_hi:[1,1,0] neg_lo:[0,0,1] neg_hi:[0,0,1]
	v_pk_fma_f32 v[18:19], v[18:19], v[32:33], v[50:51] op_sel:[0,0,1] op_sel_hi:[0,1,0]
	v_pk_fma_f32 v[32:33], v[2:3], v[36:37], v[10:11] op_sel:[0,0,1] op_sel_hi:[1,1,0] neg_lo:[0,0,1] neg_hi:[0,0,1]
	v_pk_fma_f32 v[36:37], v[2:3], v[36:37], v[10:11] op_sel:[0,0,1] op_sel_hi:[0,1,0]
	v_mov_b32_e32 v2, v21
	v_pk_mul_f32 v[2:3], v[2:3], v[34:35] op_sel_hi:[0,1]
	v_mov_b32_e32 v8, v23
	v_mov_b32_e32 v0, v7
	v_pk_fma_f32 v[50:51], v[20:21], v[34:35], v[2:3] op_sel:[0,0,1] op_sel_hi:[1,1,0] neg_lo:[0,0,1] neg_hi:[0,0,1]
	v_pk_fma_f32 v[34:35], v[20:21], v[34:35], v[2:3] op_sel:[0,0,1] op_sel_hi:[0,1,0]
	v_mov_b32_e32 v2, v5
	v_mov_b32_e32 v10, v17
	s_waitcnt vmcnt(1)
	v_pk_mul_f32 v[8:9], v[8:9], v[40:41] op_sel_hi:[0,1]
	v_pk_mul_f32 v[0:1], v[0:1], v[38:39] op_sel_hi:[0,1]
	s_waitcnt vmcnt(0)
	v_pk_mul_f32 v[2:3], v[2:3], v[44:45] op_sel_hi:[0,1]
	v_pk_fma_f32 v[58:59], v[22:23], v[40:41], v[8:9] op_sel:[0,0,1] op_sel_hi:[1,1,0] neg_lo:[0,0,1] neg_hi:[0,0,1]
	v_pk_fma_f32 v[20:21], v[22:23], v[40:41], v[8:9] op_sel:[0,0,1] op_sel_hi:[0,1,0]
	v_pk_fma_f32 v[40:41], v[6:7], v[38:39], v[0:1] op_sel:[0,0,1] op_sel_hi:[1,1,0] neg_lo:[0,0,1] neg_hi:[0,0,1]
	v_pk_fma_f32 v[22:23], v[6:7], v[38:39], v[0:1] op_sel:[0,0,1] op_sel_hi:[0,1,0]
	v_mov_b32_e32 v0, v47
	v_pk_fma_f32 v[38:39], v[4:5], v[44:45], v[2:3] op_sel:[0,0,1] op_sel_hi:[1,1,0] neg_lo:[0,0,1] neg_hi:[0,0,1]
	v_pk_fma_f32 v[44:45], v[4:5], v[44:45], v[2:3] op_sel:[0,0,1] op_sel_hi:[0,1,0]
	v_pk_mul_f32 v[4:5], v[10:11], v[42:43] op_sel_hi:[0,1]
	v_pk_fma_f32 v[60:61], v[16:17], v[42:43], v[4:5] op_sel:[0,0,1] op_sel_hi:[1,1,0] neg_lo:[0,0,1] neg_hi:[0,0,1]
	v_pk_fma_f32 v[42:43], v[16:17], v[42:43], v[4:5] op_sel:[0,0,1] op_sel_hi:[0,1,0]
	v_mad_u64_u32 v[4:5], s[0:1], s4, v62, 0
	v_mad_u64_u32 v[0:1], s[0:1], s5, v24, v[0:1]
	;; [unrolled: 1-line block ×3, first 2 shown]
	v_mov_b32_e32 v47, v0
	v_mov_b32_e32 v0, v5
	;; [unrolled: 1-line block ×3, first 2 shown]
	v_mad_u64_u32 v[0:1], s[0:1], s5, v62, v[0:1]
	v_mad_u64_u32 v[6:7], s[0:1], s4, v63, 0
	;; [unrolled: 1-line block ×3, first 2 shown]
	v_add_u32_e32 v1, 20, v24
	v_mov_b32_e32 v10, v7
	v_mov_b32_e32 v3, v8
	v_mad_u64_u32 v[8:9], s[0:1], s4, v1, 0
	v_mad_u64_u32 v[10:11], s[0:1], s5, v63, v[10:11]
	v_mov_b32_e32 v5, v0
	v_mov_b32_e32 v0, v9
	v_mad_u64_u32 v[0:1], s[0:1], s5, v1, v[0:1]
	v_add_u32_e32 v11, 25, v24
	v_mov_b32_e32 v9, v0
	v_mad_u64_u32 v[0:1], s[0:1], s4, v11, 0
	v_mov_b32_e32 v7, v10
	v_mov_b32_e32 v10, v1
	v_mad_u64_u32 v[10:11], s[0:1], s5, v11, v[10:11]
	v_add_u32_e32 v17, 30, v24
	v_mov_b32_e32 v1, v10
	v_mad_u64_u32 v[10:11], s[0:1], s4, v17, 0
	v_mov_b32_e32 v16, v11
	v_mad_u64_u32 v[16:17], s[0:1], s5, v17, v[16:17]
	v_add_u32_e32 v17, 35, v24
	v_mad_u64_u32 v[62:63], s[0:1], s4, v17, 0
	v_mov_b32_e32 v11, v16
	v_mov_b32_e32 v16, v63
	v_mad_u64_u32 v[16:17], s[0:1], s5, v17, v[16:17]
	v_or_b32_e32 v17, 40, v24
	v_mad_u64_u32 v[64:65], s[0:1], s4, v17, 0
	v_mov_b32_e32 v63, v16
	v_mov_b32_e32 v16, v65
	v_mad_u64_u32 v[16:17], s[0:1], s5, v17, v[16:17]
	v_add_u32_e32 v17, 45, v24
	v_mad_u64_u32 v[66:67], s[0:1], s4, v17, 0
	v_mov_b32_e32 v65, v16
	v_mov_b32_e32 v16, v67
	v_mad_u64_u32 v[16:17], s[0:1], s5, v17, v[16:17]
	v_add_u32_e32 v17, 50, v24
	v_mad_u64_u32 v[24:25], s[0:1], s4, v17, 0
	v_mov_b32_e32 v67, v16
	v_mov_b32_e32 v16, v25
	v_mad_u64_u32 v[16:17], s[0:1], s5, v17, v[16:17]
	v_mov_b32_e32 v59, v21
	v_mov_b32_e32 v55, v31
	;; [unrolled: 1-line block ×4, first 2 shown]
	v_pk_add_f32 v[20:21], v[54:55], v[58:59] neg_lo:[0,1] neg_hi:[0,1]
	v_mov_b32_e32 v57, v19
	v_lshl_add_u64 v[68:69], v[2:3], 3, v[14:15]
	v_lshl_add_u64 v[2:3], v[10:11], 3, v[14:15]
	;; [unrolled: 1-line block ×3, first 2 shown]
	v_pk_add_f32 v[18:19], v[54:55], v[58:59]
	v_pk_add_f32 v[22:23], v[56:57], v[40:41] neg_lo:[0,1] neg_hi:[0,1]
	v_pk_mul_f32 v[24:25], v[20:21], s[6:7] op_sel:[1,0] op_sel_hi:[0,0]
	v_lshl_add_u64 v[46:47], v[46:47], 3, v[14:15]
	v_lshl_add_u64 v[70:71], v[4:5], 3, v[14:15]
	v_lshl_add_u64 v[72:73], v[6:7], 3, v[14:15]
	v_lshl_add_u64 v[16:17], v[8:9], 3, v[14:15]
	v_lshl_add_u64 v[0:1], v[0:1], 3, v[14:15]
	v_lshl_add_u64 v[4:5], v[62:63], 3, v[14:15]
	v_lshl_add_u64 v[6:7], v[64:65], 3, v[14:15]
	v_lshl_add_u64 v[8:9], v[66:67], 3, v[14:15]
	v_pk_add_f32 v[14:15], v[56:57], v[40:41]
	v_mov_b32_e32 v53, v29
	v_mov_b32_e32 v49, v27
	s_mov_b32 s0, 0x3ed4b147
	v_pk_mul_f32 v[26:27], v[22:23], s[18:19] op_sel:[1,0] op_sel_hi:[0,0]
	v_pk_fma_f32 v[28:29], v[18:19], s[2:3], v[24:25] op_sel_hi:[1,0,1]
	v_pk_fma_f32 v[24:25], v[18:19], s[2:3], v[24:25] op_sel_hi:[1,0,1] neg_lo:[0,0,1] neg_hi:[0,0,1]
	v_mov_b32_e32 v51, v35
	v_mov_b32_e32 v30, v28
	;; [unrolled: 1-line block ×3, first 2 shown]
	v_pk_fma_f32 v[34:35], v[14:15], s[0:1], v[26:27] op_sel_hi:[1,0,1]
	v_pk_fma_f32 v[26:27], v[14:15], s[0:1], v[26:27] op_sel_hi:[1,0,1] neg_lo:[0,0,1] neg_hi:[0,0,1]
	v_mov_b32_e32 v33, v37
	v_pk_add_f32 v[30:31], v[12:13], v[30:31]
	v_mov_b32_e32 v36, v34
	v_mov_b32_e32 v37, v27
	v_pk_add_f32 v[30:31], v[30:31], v[36:37]
	v_pk_add_f32 v[36:37], v[12:13], v[54:55]
	v_mov_b32_e32 v61, v43
	v_pk_add_f32 v[36:37], v[36:37], v[56:57]
	v_mov_b32_e32 v39, v45
	v_pk_add_f32 v[36:37], v[36:37], v[50:51]
	v_pk_add_f32 v[42:43], v[48:49], v[52:53] neg_lo:[0,1] neg_hi:[0,1]
	v_pk_add_f32 v[36:37], v[36:37], v[32:33]
	v_pk_add_f32 v[44:45], v[48:49], v[52:53]
	;; [unrolled: 1-line block ×3, first 2 shown]
	s_mov_b32 s4, 0xbe11bafb
	v_pk_add_f32 v[36:37], v[36:37], v[52:53]
	v_pk_add_f32 v[52:53], v[50:51], v[38:39] neg_lo:[0,1] neg_hi:[0,1]
	v_pk_add_f32 v[36:37], v[60:61], v[36:37]
	v_pk_add_f32 v[50:51], v[50:51], v[38:39]
	;; [unrolled: 1-line block ×3, first 2 shown]
	v_pk_mul_f32 v[38:39], v[52:53], s[10:11] op_sel:[1,0] op_sel_hi:[0,0]
	v_pk_add_f32 v[36:37], v[40:41], v[36:37]
	v_pk_add_f32 v[48:49], v[32:33], v[60:61] neg_lo:[0,1] neg_hi:[0,1]
	v_pk_add_f32 v[36:37], v[58:59], v[36:37]
	global_store_dwordx2 v[46:47], v[36:37], off
	v_pk_fma_f32 v[36:37], v[50:51], s[4:5], v[38:39] op_sel_hi:[1,0,1]
	v_pk_fma_f32 v[38:39], v[50:51], s[4:5], v[38:39] op_sel_hi:[1,0,1] neg_lo:[0,0,1] neg_hi:[0,0,1]
	v_pk_add_f32 v[32:33], v[32:33], v[60:61]
	v_pk_mul_f32 v[40:41], v[48:49], s[12:13] op_sel:[1,0] op_sel_hi:[0,0]
	v_mov_b32_e32 v46, v36
	v_mov_b32_e32 v47, v39
	v_pk_add_f32 v[30:31], v[30:31], v[46:47]
	v_pk_fma_f32 v[46:47], v[32:33], s[8:9], v[40:41] op_sel_hi:[1,0,1]
	v_pk_fma_f32 v[40:41], v[32:33], s[8:9], v[40:41] op_sel_hi:[1,0,1] neg_lo:[0,0,1] neg_hi:[0,0,1]
	v_mov_b32_e32 v25, v29
	v_mov_b32_e32 v54, v46
	;; [unrolled: 1-line block ×4, first 2 shown]
	v_pk_add_f32 v[24:25], v[12:13], v[24:25]
	v_pk_add_f32 v[30:31], v[30:31], v[54:55]
	v_pk_mul_f32 v[54:55], v[42:43], s[16:17] op_sel:[1,0] op_sel_hi:[0,0]
	v_pk_add_f32 v[24:25], v[24:25], v[26:27]
	v_mov_b32_e32 v39, v37
	v_pk_fma_f32 v[56:57], v[44:45], s[14:15], v[54:55] op_sel_hi:[1,0,1]
	v_pk_fma_f32 v[54:55], v[44:45], s[14:15], v[54:55] op_sel_hi:[1,0,1] neg_lo:[0,0,1] neg_hi:[0,0,1]
	v_pk_add_f32 v[24:25], v[24:25], v[38:39]
	v_mov_b32_e32 v41, v47
	v_mov_b32_e32 v59, v55
	v_pk_add_f32 v[24:25], v[24:25], v[40:41]
	v_mov_b32_e32 v55, v57
	v_pk_add_f32 v[24:25], v[24:25], v[54:55]
	global_store_dwordx2 v[68:69], v[24:25], off
	v_pk_mul_f32 v[24:25], v[20:21], s[18:19] op_sel:[1,0] op_sel_hi:[0,0]
	v_pk_mul_f32 v[26:27], v[22:23], s[12:13] op_sel:[1,0] op_sel_hi:[0,0]
	v_pk_fma_f32 v[36:37], v[18:19], s[0:1], v[24:25] op_sel_hi:[1,0,1]
	v_pk_fma_f32 v[24:25], v[18:19], s[0:1], v[24:25] op_sel_hi:[1,0,1] neg_lo:[0,0,1] neg_hi:[0,0,1]
	v_mov_b32_e32 v38, v36
	v_mov_b32_e32 v39, v25
	v_pk_fma_f32 v[40:41], v[14:15], s[8:9], v[26:27] op_sel_hi:[1,0,1]
	v_pk_fma_f32 v[26:27], v[14:15], s[8:9], v[26:27] op_sel_hi:[1,0,1] neg_lo:[0,0,1] neg_hi:[0,0,1]
	v_pk_mul_f32 v[28:29], v[52:53], s[22:23] op_sel:[1,0] op_sel_hi:[0,0]
	v_pk_add_f32 v[38:39], v[12:13], v[38:39]
	v_mov_b32_e32 v46, v40
	v_mov_b32_e32 v47, v27
	v_pk_add_f32 v[38:39], v[38:39], v[46:47]
	v_pk_fma_f32 v[46:47], v[50:51], s[14:15], v[28:29] op_sel_hi:[1,0,1]
	v_pk_fma_f32 v[28:29], v[50:51], s[14:15], v[28:29] op_sel_hi:[1,0,1] neg_lo:[0,0,1] neg_hi:[0,0,1]
	v_pk_mul_f32 v[34:35], v[48:49], s[20:21] op_sel:[1,0] op_sel_hi:[0,0]
	v_mov_b32_e32 v54, v46
	v_mov_b32_e32 v55, v29
	v_pk_add_f32 v[38:39], v[38:39], v[54:55]
	v_pk_fma_f32 v[54:55], v[32:33], s[4:5], v[34:35] op_sel_hi:[1,0,1]
	v_pk_fma_f32 v[34:35], v[32:33], s[4:5], v[34:35] op_sel_hi:[1,0,1] neg_lo:[0,0,1] neg_hi:[0,0,1]
	v_mov_b32_e32 v25, v37
	v_mov_b32_e32 v58, v56
	;; [unrolled: 1-line block ×4, first 2 shown]
	s_mov_b32 s18, 0x3f0a6770
	v_mov_b32_e32 v27, v41
	v_pk_add_f32 v[24:25], v[12:13], v[24:25]
	v_pk_add_f32 v[38:39], v[38:39], v[56:57]
	v_pk_mul_f32 v[56:57], v[42:43], s[18:19] op_sel:[1,0] op_sel_hi:[0,0]
	v_pk_add_f32 v[24:25], v[24:25], v[26:27]
	v_mov_b32_e32 v29, v47
	v_pk_add_f32 v[30:31], v[30:31], v[58:59]
	v_pk_fma_f32 v[58:59], v[44:45], s[2:3], v[56:57] op_sel_hi:[1,0,1]
	v_pk_fma_f32 v[56:57], v[44:45], s[2:3], v[56:57] op_sel_hi:[1,0,1] neg_lo:[0,0,1] neg_hi:[0,0,1]
	v_pk_add_f32 v[24:25], v[24:25], v[28:29]
	v_mov_b32_e32 v35, v55
	v_mov_b32_e32 v61, v57
	v_pk_add_f32 v[24:25], v[24:25], v[34:35]
	v_mov_b32_e32 v57, v59
	v_pk_add_f32 v[24:25], v[24:25], v[56:57]
	global_store_dwordx2 v[70:71], v[24:25], off
	v_pk_mul_f32 v[24:25], v[20:21], s[10:11] op_sel:[1,0] op_sel_hi:[0,0]
	v_pk_mul_f32 v[26:27], v[22:23], s[22:23] op_sel:[1,0] op_sel_hi:[0,0]
	v_pk_fma_f32 v[36:37], v[18:19], s[4:5], v[24:25] op_sel_hi:[1,0,1]
	v_pk_fma_f32 v[24:25], v[18:19], s[4:5], v[24:25] op_sel_hi:[1,0,1] neg_lo:[0,0,1] neg_hi:[0,0,1]
	s_mov_b32 s22, 0x3f68dda4
	v_mov_b32_e32 v40, v36
	v_mov_b32_e32 v41, v25
	v_pk_fma_f32 v[46:47], v[14:15], s[14:15], v[26:27] op_sel_hi:[1,0,1]
	v_pk_fma_f32 v[26:27], v[14:15], s[14:15], v[26:27] op_sel_hi:[1,0,1] neg_lo:[0,0,1] neg_hi:[0,0,1]
	v_pk_mul_f32 v[28:29], v[52:53], s[22:23] op_sel:[1,0] op_sel_hi:[0,0]
	v_pk_add_f32 v[40:41], v[12:13], v[40:41]
	v_mov_b32_e32 v54, v46
	v_mov_b32_e32 v55, v27
	v_pk_add_f32 v[40:41], v[40:41], v[54:55]
	v_pk_fma_f32 v[54:55], v[50:51], s[0:1], v[28:29] op_sel_hi:[1,0,1]
	v_pk_fma_f32 v[28:29], v[50:51], s[0:1], v[28:29] op_sel_hi:[1,0,1] neg_lo:[0,0,1] neg_hi:[0,0,1]
	v_pk_mul_f32 v[34:35], v[48:49], s[6:7] op_sel:[1,0] op_sel_hi:[0,0]
	v_mov_b32_e32 v56, v54
	v_mov_b32_e32 v57, v29
	v_pk_add_f32 v[40:41], v[40:41], v[56:57]
	v_pk_fma_f32 v[56:57], v[32:33], s[2:3], v[34:35] op_sel_hi:[1,0,1]
	v_pk_fma_f32 v[34:35], v[32:33], s[2:3], v[34:35] op_sel_hi:[1,0,1] neg_lo:[0,0,1] neg_hi:[0,0,1]
	v_mov_b32_e32 v25, v37
	v_mov_b32_e32 v60, v58
	;; [unrolled: 1-line block ×5, first 2 shown]
	v_pk_add_f32 v[24:25], v[12:13], v[24:25]
	v_pk_add_f32 v[40:41], v[40:41], v[58:59]
	v_pk_mul_f32 v[58:59], v[42:43], s[12:13] op_sel:[1,0] op_sel_hi:[0,0]
	v_pk_add_f32 v[24:25], v[24:25], v[26:27]
	v_mov_b32_e32 v29, v55
	v_pk_add_f32 v[38:39], v[38:39], v[60:61]
	v_pk_fma_f32 v[60:61], v[44:45], s[8:9], v[58:59] op_sel_hi:[1,0,1]
	v_pk_fma_f32 v[58:59], v[44:45], s[8:9], v[58:59] op_sel_hi:[1,0,1] neg_lo:[0,0,1] neg_hi:[0,0,1]
	v_pk_add_f32 v[24:25], v[24:25], v[28:29]
	v_mov_b32_e32 v35, v57
	v_mov_b32_e32 v63, v59
	v_pk_add_f32 v[24:25], v[24:25], v[34:35]
	v_mov_b32_e32 v59, v61
	v_pk_add_f32 v[24:25], v[24:25], v[58:59]
	global_store_dwordx2 v[72:73], v[24:25], off
	v_pk_mul_f32 v[24:25], v[20:21], s[12:13] op_sel:[1,0] op_sel_hi:[0,0]
	v_pk_mul_f32 v[26:27], v[22:23], s[20:21] op_sel:[1,0] op_sel_hi:[0,0]
	v_pk_fma_f32 v[36:37], v[18:19], s[8:9], v[24:25] op_sel_hi:[1,0,1]
	v_pk_fma_f32 v[24:25], v[18:19], s[8:9], v[24:25] op_sel_hi:[1,0,1] neg_lo:[0,0,1] neg_hi:[0,0,1]
	v_mov_b32_e32 v46, v36
	v_mov_b32_e32 v47, v25
	v_pk_fma_f32 v[54:55], v[14:15], s[4:5], v[26:27] op_sel_hi:[1,0,1]
	v_pk_fma_f32 v[26:27], v[14:15], s[4:5], v[26:27] op_sel_hi:[1,0,1] neg_lo:[0,0,1] neg_hi:[0,0,1]
	v_pk_mul_f32 v[28:29], v[52:53], s[6:7] op_sel:[1,0] op_sel_hi:[0,0]
	v_pk_add_f32 v[46:47], v[12:13], v[46:47]
	v_mov_b32_e32 v56, v54
	v_mov_b32_e32 v57, v27
	v_pk_add_f32 v[46:47], v[46:47], v[56:57]
	v_pk_fma_f32 v[56:57], v[50:51], s[2:3], v[28:29] op_sel_hi:[1,0,1]
	v_pk_fma_f32 v[28:29], v[50:51], s[2:3], v[28:29] op_sel_hi:[1,0,1] neg_lo:[0,0,1] neg_hi:[0,0,1]
	v_pk_mul_f32 v[34:35], v[48:49], s[16:17] op_sel:[1,0] op_sel_hi:[0,0]
	v_mov_b32_e32 v58, v56
	v_mov_b32_e32 v59, v29
	v_pk_add_f32 v[46:47], v[46:47], v[58:59]
	v_pk_fma_f32 v[58:59], v[32:33], s[14:15], v[34:35] op_sel_hi:[1,0,1]
	v_pk_fma_f32 v[34:35], v[32:33], s[14:15], v[34:35] op_sel_hi:[1,0,1] neg_lo:[0,0,1] neg_hi:[0,0,1]
	v_mov_b32_e32 v25, v37
	v_mov_b32_e32 v62, v60
	;; [unrolled: 1-line block ×5, first 2 shown]
	v_pk_add_f32 v[24:25], v[12:13], v[24:25]
	v_pk_add_f32 v[46:47], v[46:47], v[60:61]
	v_pk_mul_f32 v[60:61], v[42:43], s[22:23] op_sel:[1,0] op_sel_hi:[0,0]
	v_pk_add_f32 v[24:25], v[24:25], v[26:27]
	v_mov_b32_e32 v29, v57
	v_pk_add_f32 v[40:41], v[40:41], v[62:63]
	v_pk_fma_f32 v[62:63], v[44:45], s[0:1], v[60:61] op_sel_hi:[1,0,1]
	v_pk_fma_f32 v[60:61], v[44:45], s[0:1], v[60:61] op_sel_hi:[1,0,1] neg_lo:[0,0,1] neg_hi:[0,0,1]
	v_pk_add_f32 v[24:25], v[24:25], v[28:29]
	v_mov_b32_e32 v35, v59
	v_mov_b32_e32 v65, v61
	v_pk_add_f32 v[24:25], v[24:25], v[34:35]
	v_mov_b32_e32 v61, v63
	v_pk_add_f32 v[24:25], v[24:25], v[60:61]
	global_store_dwordx2 v[16:17], v[24:25], off
	v_pk_mul_f32 v[16:17], v[20:21], s[16:17] op_sel:[1,0] op_sel_hi:[0,0]
	v_pk_mul_f32 v[20:21], v[22:23], s[18:19] op_sel:[1,0] op_sel_hi:[0,0]
	v_pk_fma_f32 v[28:29], v[18:19], s[14:15], v[16:17] op_sel_hi:[1,0,1]
	v_pk_fma_f32 v[16:17], v[18:19], s[14:15], v[16:17] op_sel_hi:[1,0,1] neg_lo:[0,0,1] neg_hi:[0,0,1]
	v_mov_b32_e32 v18, v28
	v_mov_b32_e32 v19, v17
	v_pk_fma_f32 v[34:35], v[14:15], s[2:3], v[20:21] op_sel_hi:[1,0,1]
	v_pk_fma_f32 v[14:15], v[14:15], s[2:3], v[20:21] op_sel_hi:[1,0,1] neg_lo:[0,0,1] neg_hi:[0,0,1]
	v_pk_mul_f32 v[22:23], v[52:53], s[12:13] op_sel:[1,0] op_sel_hi:[0,0]
	v_pk_add_f32 v[18:19], v[12:13], v[18:19]
	v_mov_b32_e32 v20, v34
	v_mov_b32_e32 v21, v15
	v_pk_add_f32 v[18:19], v[18:19], v[20:21]
	v_pk_fma_f32 v[20:21], v[50:51], s[8:9], v[22:23] op_sel_hi:[1,0,1]
	v_pk_fma_f32 v[22:23], v[50:51], s[8:9], v[22:23] op_sel_hi:[1,0,1] neg_lo:[0,0,1] neg_hi:[0,0,1]
	v_pk_mul_f32 v[24:25], v[48:49], s[22:23] op_sel:[1,0] op_sel_hi:[0,0]
	v_mov_b32_e32 v36, v20
	v_mov_b32_e32 v37, v23
	;; [unrolled: 1-line block ×3, first 2 shown]
	v_pk_add_f32 v[18:19], v[18:19], v[36:37]
	v_pk_fma_f32 v[36:37], v[32:33], s[0:1], v[24:25] op_sel_hi:[1,0,1]
	v_pk_fma_f32 v[24:25], v[32:33], s[0:1], v[24:25] op_sel_hi:[1,0,1] neg_lo:[0,0,1] neg_hi:[0,0,1]
	v_pk_add_f32 v[12:13], v[12:13], v[16:17]
	v_mov_b32_e32 v15, v35
	v_pk_mul_f32 v[26:27], v[42:43], s[10:11] op_sel:[1,0] op_sel_hi:[0,0]
	v_mov_b32_e32 v32, v36
	v_mov_b32_e32 v33, v25
	v_pk_add_f32 v[12:13], v[12:13], v[14:15]
	v_mov_b32_e32 v23, v21
	v_pk_add_f32 v[18:19], v[18:19], v[32:33]
	v_pk_fma_f32 v[32:33], v[44:45], s[4:5], v[26:27] op_sel_hi:[1,0,1]
	v_pk_fma_f32 v[26:27], v[44:45], s[4:5], v[26:27] op_sel_hi:[1,0,1] neg_lo:[0,0,1] neg_hi:[0,0,1]
	v_pk_add_f32 v[12:13], v[12:13], v[22:23]
	v_mov_b32_e32 v25, v37
	v_mov_b32_e32 v43, v27
	v_pk_add_f32 v[12:13], v[12:13], v[24:25]
	v_mov_b32_e32 v27, v33
	v_mov_b32_e32 v64, v62
	;; [unrolled: 1-line block ×3, first 2 shown]
	v_pk_add_f32 v[12:13], v[12:13], v[26:27]
	v_pk_add_f32 v[46:47], v[46:47], v[64:65]
	;; [unrolled: 1-line block ×3, first 2 shown]
	global_store_dwordx2 v[0:1], v[12:13], off
	global_store_dwordx2 v[2:3], v[18:19], off
	;; [unrolled: 1-line block ×6, first 2 shown]
	s_endpgm
	.section	.rodata,"a",@progbits
	.p2align	6, 0x0
	.amdhsa_kernel fft_rtc_fwd_len55_factors_5_11_wgs_121_tpt_11_dim1_sp_ip_CI_sbrr_dirReg
		.amdhsa_group_segment_fixed_size 0
		.amdhsa_private_segment_fixed_size 0
		.amdhsa_kernarg_size 80
		.amdhsa_user_sgpr_count 2
		.amdhsa_user_sgpr_dispatch_ptr 0
		.amdhsa_user_sgpr_queue_ptr 0
		.amdhsa_user_sgpr_kernarg_segment_ptr 1
		.amdhsa_user_sgpr_dispatch_id 0
		.amdhsa_user_sgpr_kernarg_preload_length 0
		.amdhsa_user_sgpr_kernarg_preload_offset 0
		.amdhsa_user_sgpr_private_segment_size 0
		.amdhsa_uses_dynamic_stack 0
		.amdhsa_enable_private_segment 0
		.amdhsa_system_sgpr_workgroup_id_x 1
		.amdhsa_system_sgpr_workgroup_id_y 0
		.amdhsa_system_sgpr_workgroup_id_z 0
		.amdhsa_system_sgpr_workgroup_info 0
		.amdhsa_system_vgpr_workitem_id 0
		.amdhsa_next_free_vgpr 74
		.amdhsa_next_free_sgpr 24
		.amdhsa_accum_offset 76
		.amdhsa_reserve_vcc 1
		.amdhsa_float_round_mode_32 0
		.amdhsa_float_round_mode_16_64 0
		.amdhsa_float_denorm_mode_32 3
		.amdhsa_float_denorm_mode_16_64 3
		.amdhsa_dx10_clamp 1
		.amdhsa_ieee_mode 1
		.amdhsa_fp16_overflow 0
		.amdhsa_tg_split 0
		.amdhsa_exception_fp_ieee_invalid_op 0
		.amdhsa_exception_fp_denorm_src 0
		.amdhsa_exception_fp_ieee_div_zero 0
		.amdhsa_exception_fp_ieee_overflow 0
		.amdhsa_exception_fp_ieee_underflow 0
		.amdhsa_exception_fp_ieee_inexact 0
		.amdhsa_exception_int_div_zero 0
	.end_amdhsa_kernel
	.text
.Lfunc_end0:
	.size	fft_rtc_fwd_len55_factors_5_11_wgs_121_tpt_11_dim1_sp_ip_CI_sbrr_dirReg, .Lfunc_end0-fft_rtc_fwd_len55_factors_5_11_wgs_121_tpt_11_dim1_sp_ip_CI_sbrr_dirReg
                                        ; -- End function
	.section	.AMDGPU.csdata,"",@progbits
; Kernel info:
; codeLenInByte = 3524
; NumSgprs: 30
; NumVgprs: 74
; NumAgprs: 0
; TotalNumVgprs: 74
; ScratchSize: 0
; MemoryBound: 0
; FloatMode: 240
; IeeeMode: 1
; LDSByteSize: 0 bytes/workgroup (compile time only)
; SGPRBlocks: 3
; VGPRBlocks: 9
; NumSGPRsForWavesPerEU: 30
; NumVGPRsForWavesPerEU: 74
; AccumOffset: 76
; Occupancy: 6
; WaveLimiterHint : 1
; COMPUTE_PGM_RSRC2:SCRATCH_EN: 0
; COMPUTE_PGM_RSRC2:USER_SGPR: 2
; COMPUTE_PGM_RSRC2:TRAP_HANDLER: 0
; COMPUTE_PGM_RSRC2:TGID_X_EN: 1
; COMPUTE_PGM_RSRC2:TGID_Y_EN: 0
; COMPUTE_PGM_RSRC2:TGID_Z_EN: 0
; COMPUTE_PGM_RSRC2:TIDIG_COMP_CNT: 0
; COMPUTE_PGM_RSRC3_GFX90A:ACCUM_OFFSET: 18
; COMPUTE_PGM_RSRC3_GFX90A:TG_SPLIT: 0
	.text
	.p2alignl 6, 3212836864
	.fill 256, 4, 3212836864
	.type	__hip_cuid_aa14f952b1f02008,@object ; @__hip_cuid_aa14f952b1f02008
	.section	.bss,"aw",@nobits
	.globl	__hip_cuid_aa14f952b1f02008
__hip_cuid_aa14f952b1f02008:
	.byte	0                               ; 0x0
	.size	__hip_cuid_aa14f952b1f02008, 1

	.ident	"AMD clang version 19.0.0git (https://github.com/RadeonOpenCompute/llvm-project roc-6.4.0 25133 c7fe45cf4b819c5991fe208aaa96edf142730f1d)"
	.section	".note.GNU-stack","",@progbits
	.addrsig
	.addrsig_sym __hip_cuid_aa14f952b1f02008
	.amdgpu_metadata
---
amdhsa.kernels:
  - .agpr_count:     0
    .args:
      - .actual_access:  read_only
        .address_space:  global
        .offset:         0
        .size:           8
        .value_kind:     global_buffer
      - .actual_access:  read_only
        .address_space:  global
        .offset:         8
        .size:           8
        .value_kind:     global_buffer
      - .actual_access:  read_only
        .address_space:  global
        .offset:         16
        .size:           8
        .value_kind:     global_buffer
      - .offset:         24
        .size:           8
        .value_kind:     by_value
      - .actual_access:  read_only
        .address_space:  global
        .offset:         32
        .size:           8
        .value_kind:     global_buffer
      - .actual_access:  read_only
        .address_space:  global
        .offset:         40
        .size:           8
        .value_kind:     global_buffer
      - .offset:         48
        .size:           4
        .value_kind:     by_value
      - .actual_access:  read_only
        .address_space:  global
        .offset:         56
        .size:           8
        .value_kind:     global_buffer
      - .actual_access:  read_only
        .address_space:  global
        .offset:         64
        .size:           8
        .value_kind:     global_buffer
      - .address_space:  global
        .offset:         72
        .size:           8
        .value_kind:     global_buffer
    .group_segment_fixed_size: 0
    .kernarg_segment_align: 8
    .kernarg_segment_size: 80
    .language:       OpenCL C
    .language_version:
      - 2
      - 0
    .max_flat_workgroup_size: 121
    .name:           fft_rtc_fwd_len55_factors_5_11_wgs_121_tpt_11_dim1_sp_ip_CI_sbrr_dirReg
    .private_segment_fixed_size: 0
    .sgpr_count:     30
    .sgpr_spill_count: 0
    .symbol:         fft_rtc_fwd_len55_factors_5_11_wgs_121_tpt_11_dim1_sp_ip_CI_sbrr_dirReg.kd
    .uniform_work_group_size: 1
    .uses_dynamic_stack: false
    .vgpr_count:     74
    .vgpr_spill_count: 0
    .wavefront_size: 64
amdhsa.target:   amdgcn-amd-amdhsa--gfx950
amdhsa.version:
  - 1
  - 2
...

	.end_amdgpu_metadata
